;; amdgpu-corpus repo=ROCm/rocFFT kind=compiled arch=gfx1201 opt=O3
	.text
	.amdgcn_target "amdgcn-amd-amdhsa--gfx1201"
	.amdhsa_code_object_version 6
	.protected	fft_rtc_back_len176_factors_11_16_wgs_64_tpt_16_halfLds_sp_op_CI_CI_unitstride_sbrr_dirReg ; -- Begin function fft_rtc_back_len176_factors_11_16_wgs_64_tpt_16_halfLds_sp_op_CI_CI_unitstride_sbrr_dirReg
	.globl	fft_rtc_back_len176_factors_11_16_wgs_64_tpt_16_halfLds_sp_op_CI_CI_unitstride_sbrr_dirReg
	.p2align	8
	.type	fft_rtc_back_len176_factors_11_16_wgs_64_tpt_16_halfLds_sp_op_CI_CI_unitstride_sbrr_dirReg,@function
fft_rtc_back_len176_factors_11_16_wgs_64_tpt_16_halfLds_sp_op_CI_CI_unitstride_sbrr_dirReg: ; @fft_rtc_back_len176_factors_11_16_wgs_64_tpt_16_halfLds_sp_op_CI_CI_unitstride_sbrr_dirReg
; %bb.0:
	s_clause 0x2
	s_load_b128 s[8:11], s[0:1], 0x0
	s_load_b128 s[4:7], s[0:1], 0x58
	;; [unrolled: 1-line block ×3, first 2 shown]
	v_lshrrev_b32_e32 v10, 4, v0
	v_dual_mov_b32 v3, 0 :: v_dual_mov_b32 v6, 0
	v_mov_b32_e32 v7, 0
	s_delay_alu instid0(VALU_DEP_3) | instskip(NEXT) | instid1(VALU_DEP_3)
	v_lshl_or_b32 v8, ttmp9, 2, v10
	v_mov_b32_e32 v9, v3
	s_wait_kmcnt 0x0
	v_cmp_lt_u64_e64 s2, s[10:11], 2
	s_delay_alu instid0(VALU_DEP_1)
	s_and_b32 vcc_lo, exec_lo, s2
	s_cbranch_vccnz .LBB0_8
; %bb.1:
	s_load_b64 s[2:3], s[0:1], 0x10
	v_mov_b32_e32 v6, 0
	v_mov_b32_e32 v7, 0
	s_delay_alu instid0(VALU_DEP_2)
	v_mov_b32_e32 v1, v6
	s_add_nc_u64 s[16:17], s[14:15], 8
	s_add_nc_u64 s[18:19], s[12:13], 8
	s_mov_b64 s[20:21], 1
	v_mov_b32_e32 v2, v7
	s_wait_kmcnt 0x0
	s_add_nc_u64 s[22:23], s[2:3], 8
	s_mov_b32 s3, 0
.LBB0_2:                                ; =>This Inner Loop Header: Depth=1
	s_load_b64 s[24:25], s[22:23], 0x0
	s_wait_kmcnt 0x0
	s_delay_alu instid0(VALU_DEP_1) | instskip(NEXT) | instid1(VALU_DEP_1)
	v_or_b32_e32 v4, s25, v9
	v_cmp_ne_u64_e32 vcc_lo, 0, v[3:4]
                                        ; implicit-def: $vgpr4_vgpr5
	s_and_saveexec_b32 s2, vcc_lo
	s_wait_alu 0xfffe
	s_xor_b32 s26, exec_lo, s2
	s_cbranch_execz .LBB0_4
; %bb.3:                                ;   in Loop: Header=BB0_2 Depth=1
	s_cvt_f32_u32 s2, s24
	s_cvt_f32_u32 s27, s25
	s_sub_nc_u64 s[30:31], 0, s[24:25]
	s_wait_alu 0xfffe
	s_delay_alu instid0(SALU_CYCLE_1) | instskip(SKIP_1) | instid1(SALU_CYCLE_2)
	s_fmamk_f32 s2, s27, 0x4f800000, s2
	s_wait_alu 0xfffe
	v_s_rcp_f32 s2, s2
	s_delay_alu instid0(TRANS32_DEP_1) | instskip(SKIP_1) | instid1(SALU_CYCLE_2)
	s_mul_f32 s2, s2, 0x5f7ffffc
	s_wait_alu 0xfffe
	s_mul_f32 s27, s2, 0x2f800000
	s_wait_alu 0xfffe
	s_delay_alu instid0(SALU_CYCLE_2) | instskip(SKIP_1) | instid1(SALU_CYCLE_2)
	s_trunc_f32 s27, s27
	s_wait_alu 0xfffe
	s_fmamk_f32 s2, s27, 0xcf800000, s2
	s_cvt_u32_f32 s29, s27
	s_wait_alu 0xfffe
	s_delay_alu instid0(SALU_CYCLE_1) | instskip(SKIP_1) | instid1(SALU_CYCLE_2)
	s_cvt_u32_f32 s28, s2
	s_wait_alu 0xfffe
	s_mul_u64 s[34:35], s[30:31], s[28:29]
	s_wait_alu 0xfffe
	s_mul_hi_u32 s37, s28, s35
	s_mul_i32 s36, s28, s35
	s_mul_hi_u32 s2, s28, s34
	s_mul_i32 s33, s29, s34
	s_wait_alu 0xfffe
	s_add_nc_u64 s[36:37], s[2:3], s[36:37]
	s_mul_hi_u32 s27, s29, s34
	s_mul_hi_u32 s38, s29, s35
	s_add_co_u32 s2, s36, s33
	s_wait_alu 0xfffe
	s_add_co_ci_u32 s2, s37, s27
	s_mul_i32 s34, s29, s35
	s_add_co_ci_u32 s35, s38, 0
	s_wait_alu 0xfffe
	s_add_nc_u64 s[34:35], s[2:3], s[34:35]
	s_wait_alu 0xfffe
	v_add_co_u32 v4, s2, s28, s34
	s_delay_alu instid0(VALU_DEP_1) | instskip(SKIP_1) | instid1(VALU_DEP_1)
	s_cmp_lg_u32 s2, 0
	s_add_co_ci_u32 s29, s29, s35
	v_readfirstlane_b32 s28, v4
	s_wait_alu 0xfffe
	s_delay_alu instid0(VALU_DEP_1)
	s_mul_u64 s[30:31], s[30:31], s[28:29]
	s_wait_alu 0xfffe
	s_mul_hi_u32 s35, s28, s31
	s_mul_i32 s34, s28, s31
	s_mul_hi_u32 s2, s28, s30
	s_mul_i32 s33, s29, s30
	s_wait_alu 0xfffe
	s_add_nc_u64 s[34:35], s[2:3], s[34:35]
	s_mul_hi_u32 s27, s29, s30
	s_mul_hi_u32 s28, s29, s31
	s_wait_alu 0xfffe
	s_add_co_u32 s2, s34, s33
	s_add_co_ci_u32 s2, s35, s27
	s_mul_i32 s30, s29, s31
	s_add_co_ci_u32 s31, s28, 0
	s_wait_alu 0xfffe
	s_add_nc_u64 s[30:31], s[2:3], s[30:31]
	s_wait_alu 0xfffe
	v_add_co_u32 v11, s2, v4, s30
	s_delay_alu instid0(VALU_DEP_1) | instskip(SKIP_1) | instid1(VALU_DEP_1)
	s_cmp_lg_u32 s2, 0
	s_add_co_ci_u32 s2, s29, s31
	v_mul_hi_u32 v15, v8, v11
	s_wait_alu 0xfffe
	v_mad_co_u64_u32 v[4:5], null, v8, s2, 0
	v_mad_co_u64_u32 v[11:12], null, v9, v11, 0
	;; [unrolled: 1-line block ×3, first 2 shown]
	s_delay_alu instid0(VALU_DEP_3) | instskip(SKIP_1) | instid1(VALU_DEP_4)
	v_add_co_u32 v4, vcc_lo, v15, v4
	s_wait_alu 0xfffd
	v_add_co_ci_u32_e32 v5, vcc_lo, 0, v5, vcc_lo
	s_delay_alu instid0(VALU_DEP_2) | instskip(SKIP_1) | instid1(VALU_DEP_2)
	v_add_co_u32 v4, vcc_lo, v4, v11
	s_wait_alu 0xfffd
	v_add_co_ci_u32_e32 v4, vcc_lo, v5, v12, vcc_lo
	s_wait_alu 0xfffd
	v_add_co_ci_u32_e32 v5, vcc_lo, 0, v14, vcc_lo
	s_delay_alu instid0(VALU_DEP_2) | instskip(SKIP_1) | instid1(VALU_DEP_2)
	v_add_co_u32 v11, vcc_lo, v4, v13
	s_wait_alu 0xfffd
	v_add_co_ci_u32_e32 v12, vcc_lo, 0, v5, vcc_lo
	s_delay_alu instid0(VALU_DEP_2) | instskip(SKIP_1) | instid1(VALU_DEP_3)
	v_mul_lo_u32 v13, s25, v11
	v_mad_co_u64_u32 v[4:5], null, s24, v11, 0
	v_mul_lo_u32 v14, s24, v12
	s_delay_alu instid0(VALU_DEP_2) | instskip(NEXT) | instid1(VALU_DEP_2)
	v_sub_co_u32 v4, vcc_lo, v8, v4
	v_add3_u32 v5, v5, v14, v13
	s_delay_alu instid0(VALU_DEP_1) | instskip(SKIP_1) | instid1(VALU_DEP_1)
	v_sub_nc_u32_e32 v13, v9, v5
	s_wait_alu 0xfffd
	v_subrev_co_ci_u32_e64 v13, s2, s25, v13, vcc_lo
	v_add_co_u32 v14, s2, v11, 2
	s_wait_alu 0xf1ff
	v_add_co_ci_u32_e64 v15, s2, 0, v12, s2
	v_sub_co_u32 v16, s2, v4, s24
	v_sub_co_ci_u32_e32 v5, vcc_lo, v9, v5, vcc_lo
	s_wait_alu 0xf1ff
	v_subrev_co_ci_u32_e64 v13, s2, 0, v13, s2
	s_delay_alu instid0(VALU_DEP_3) | instskip(NEXT) | instid1(VALU_DEP_3)
	v_cmp_le_u32_e32 vcc_lo, s24, v16
	v_cmp_eq_u32_e64 s2, s25, v5
	s_wait_alu 0xfffd
	v_cndmask_b32_e64 v16, 0, -1, vcc_lo
	v_cmp_le_u32_e32 vcc_lo, s25, v13
	s_wait_alu 0xfffd
	v_cndmask_b32_e64 v17, 0, -1, vcc_lo
	v_cmp_le_u32_e32 vcc_lo, s24, v4
	;; [unrolled: 3-line block ×3, first 2 shown]
	s_wait_alu 0xfffd
	v_cndmask_b32_e64 v18, 0, -1, vcc_lo
	v_cmp_eq_u32_e32 vcc_lo, s25, v13
	s_wait_alu 0xf1ff
	s_delay_alu instid0(VALU_DEP_2)
	v_cndmask_b32_e64 v4, v18, v4, s2
	s_wait_alu 0xfffd
	v_cndmask_b32_e32 v13, v17, v16, vcc_lo
	v_add_co_u32 v16, vcc_lo, v11, 1
	s_wait_alu 0xfffd
	v_add_co_ci_u32_e32 v17, vcc_lo, 0, v12, vcc_lo
	s_delay_alu instid0(VALU_DEP_3) | instskip(SKIP_2) | instid1(VALU_DEP_3)
	v_cmp_ne_u32_e32 vcc_lo, 0, v13
	s_wait_alu 0xfffd
	v_cndmask_b32_e32 v13, v16, v14, vcc_lo
	v_cndmask_b32_e32 v5, v17, v15, vcc_lo
	v_cmp_ne_u32_e32 vcc_lo, 0, v4
	s_wait_alu 0xfffd
	s_delay_alu instid0(VALU_DEP_3) | instskip(NEXT) | instid1(VALU_DEP_3)
	v_cndmask_b32_e32 v4, v11, v13, vcc_lo
	v_cndmask_b32_e32 v5, v12, v5, vcc_lo
.LBB0_4:                                ;   in Loop: Header=BB0_2 Depth=1
	s_wait_alu 0xfffe
	s_and_not1_saveexec_b32 s2, s26
	s_cbranch_execz .LBB0_6
; %bb.5:                                ;   in Loop: Header=BB0_2 Depth=1
	v_cvt_f32_u32_e32 v4, s24
	s_sub_co_i32 s26, 0, s24
	s_delay_alu instid0(VALU_DEP_1) | instskip(NEXT) | instid1(TRANS32_DEP_1)
	v_rcp_iflag_f32_e32 v4, v4
	v_mul_f32_e32 v4, 0x4f7ffffe, v4
	s_delay_alu instid0(VALU_DEP_1) | instskip(SKIP_1) | instid1(VALU_DEP_1)
	v_cvt_u32_f32_e32 v4, v4
	s_wait_alu 0xfffe
	v_mul_lo_u32 v5, s26, v4
	s_delay_alu instid0(VALU_DEP_1) | instskip(NEXT) | instid1(VALU_DEP_1)
	v_mul_hi_u32 v5, v4, v5
	v_add_nc_u32_e32 v4, v4, v5
	s_delay_alu instid0(VALU_DEP_1) | instskip(NEXT) | instid1(VALU_DEP_1)
	v_mul_hi_u32 v4, v8, v4
	v_mul_lo_u32 v5, v4, s24
	v_add_nc_u32_e32 v11, 1, v4
	s_delay_alu instid0(VALU_DEP_2) | instskip(NEXT) | instid1(VALU_DEP_1)
	v_sub_nc_u32_e32 v5, v8, v5
	v_subrev_nc_u32_e32 v12, s24, v5
	v_cmp_le_u32_e32 vcc_lo, s24, v5
	s_wait_alu 0xfffd
	s_delay_alu instid0(VALU_DEP_2) | instskip(NEXT) | instid1(VALU_DEP_1)
	v_dual_cndmask_b32 v5, v5, v12 :: v_dual_cndmask_b32 v4, v4, v11
	v_cmp_le_u32_e32 vcc_lo, s24, v5
	s_delay_alu instid0(VALU_DEP_2) | instskip(SKIP_1) | instid1(VALU_DEP_1)
	v_add_nc_u32_e32 v11, 1, v4
	s_wait_alu 0xfffd
	v_dual_mov_b32 v5, v3 :: v_dual_cndmask_b32 v4, v4, v11
.LBB0_6:                                ;   in Loop: Header=BB0_2 Depth=1
	s_wait_alu 0xfffe
	s_or_b32 exec_lo, exec_lo, s2
	s_delay_alu instid0(VALU_DEP_1) | instskip(NEXT) | instid1(VALU_DEP_2)
	v_mul_lo_u32 v13, v5, s24
	v_mul_lo_u32 v14, v4, s25
	s_load_b64 s[26:27], s[18:19], 0x0
	v_mad_co_u64_u32 v[11:12], null, v4, s24, 0
	s_load_b64 s[24:25], s[16:17], 0x0
	s_add_nc_u64 s[20:21], s[20:21], 1
	s_add_nc_u64 s[16:17], s[16:17], 8
	s_wait_alu 0xfffe
	v_cmp_ge_u64_e64 s2, s[20:21], s[10:11]
	s_add_nc_u64 s[18:19], s[18:19], 8
	s_add_nc_u64 s[22:23], s[22:23], 8
	v_add3_u32 v12, v12, v14, v13
	v_sub_co_u32 v8, vcc_lo, v8, v11
	s_wait_alu 0xfffd
	s_delay_alu instid0(VALU_DEP_2) | instskip(SKIP_2) | instid1(VALU_DEP_1)
	v_sub_co_ci_u32_e32 v9, vcc_lo, v9, v12, vcc_lo
	s_and_b32 vcc_lo, exec_lo, s2
	s_wait_kmcnt 0x0
	v_mul_lo_u32 v11, s26, v9
	v_mul_lo_u32 v12, s27, v8
	v_mad_co_u64_u32 v[6:7], null, s26, v8, v[6:7]
	v_mul_lo_u32 v9, s24, v9
	v_mul_lo_u32 v13, s25, v8
	v_mad_co_u64_u32 v[1:2], null, s24, v8, v[1:2]
	s_delay_alu instid0(VALU_DEP_4) | instskip(NEXT) | instid1(VALU_DEP_2)
	v_add3_u32 v7, v12, v7, v11
	v_add3_u32 v2, v13, v2, v9
	s_wait_alu 0xfffe
	s_cbranch_vccnz .LBB0_9
; %bb.7:                                ;   in Loop: Header=BB0_2 Depth=1
	v_dual_mov_b32 v9, v5 :: v_dual_mov_b32 v8, v4
	s_branch .LBB0_2
.LBB0_8:
	v_dual_mov_b32 v1, v6 :: v_dual_mov_b32 v2, v7
	v_dual_mov_b32 v4, v8 :: v_dual_mov_b32 v5, v9
.LBB0_9:
	s_load_b64 s[0:1], s[0:1], 0x28
	v_and_b32_e32 v3, 15, v0
	s_lshl_b64 s[10:11], s[10:11], 3
                                        ; implicit-def: $sgpr2_sgpr3
	s_wait_kmcnt 0x0
	v_cmp_gt_u64_e32 vcc_lo, s[0:1], v[4:5]
	v_cmp_le_u64_e64 s0, s[0:1], v[4:5]
	s_delay_alu instid0(VALU_DEP_1)
	s_and_saveexec_b32 s1, s0
	s_wait_alu 0xfffe
	s_xor_b32 s0, exec_lo, s1
; %bb.10:
	v_and_b32_e32 v3, 15, v0
	s_mov_b64 s[2:3], 0
                                        ; implicit-def: $vgpr6_vgpr7
; %bb.11:
	s_wait_alu 0xfffe
	s_or_saveexec_b32 s1, s0
	v_dual_mov_b32 v29, s3 :: v_dual_mov_b32 v28, s2
	s_add_nc_u64 s[2:3], s[14:15], s[10:11]
                                        ; implicit-def: $vgpr41
                                        ; implicit-def: $vgpr39
                                        ; implicit-def: $vgpr31
                                        ; implicit-def: $vgpr25
                                        ; implicit-def: $vgpr21
                                        ; implicit-def: $vgpr23
                                        ; implicit-def: $vgpr27
                                        ; implicit-def: $vgpr33
                                        ; implicit-def: $vgpr37
                                        ; implicit-def: $vgpr35
	s_wait_alu 0xfffe
	s_xor_b32 exec_lo, exec_lo, s1
	s_cbranch_execz .LBB0_13
; %bb.12:
	s_add_nc_u64 s[10:11], s[12:13], s[10:11]
	v_lshlrev_b64_e32 v[6:7], 3, v[6:7]
	s_load_b64 s[10:11], s[10:11], 0x0
	s_wait_kmcnt 0x0
	v_mul_lo_u32 v0, s11, v4
	v_mul_lo_u32 v11, s10, v5
	v_mad_co_u64_u32 v[8:9], null, s10, v4, 0
	s_delay_alu instid0(VALU_DEP_1) | instskip(NEXT) | instid1(VALU_DEP_1)
	v_add3_u32 v9, v9, v11, v0
	v_lshlrev_b64_e32 v[8:9], 3, v[8:9]
	s_delay_alu instid0(VALU_DEP_1) | instskip(SKIP_1) | instid1(VALU_DEP_2)
	v_add_co_u32 v0, s0, s4, v8
	s_wait_alu 0xf1ff
	v_add_co_ci_u32_e64 v8, s0, s5, v9, s0
	v_lshlrev_b32_e32 v9, 3, v3
	s_delay_alu instid0(VALU_DEP_3) | instskip(SKIP_1) | instid1(VALU_DEP_3)
	v_add_co_u32 v0, s0, v0, v6
	s_wait_alu 0xf1ff
	v_add_co_ci_u32_e64 v7, s0, v8, v7, s0
	s_delay_alu instid0(VALU_DEP_2) | instskip(SKIP_1) | instid1(VALU_DEP_2)
	v_add_co_u32 v6, s0, v0, v9
	s_wait_alu 0xf1ff
	v_add_co_ci_u32_e64 v7, s0, 0, v7, s0
	s_clause 0xa
	global_load_b64 v[28:29], v[6:7], off
	global_load_b64 v[40:41], v[6:7], off offset:128
	global_load_b64 v[38:39], v[6:7], off offset:256
	;; [unrolled: 1-line block ×10, first 2 shown]
.LBB0_13:
	s_or_b32 exec_lo, exec_lo, s1
	s_wait_loadcnt 0x1
	v_dual_add_f32 v0, v40, v28 :: v_dual_sub_f32 v9, v39, v37
	s_wait_loadcnt 0x0
	v_dual_sub_f32 v6, v41, v35 :: v_dual_add_f32 v7, v40, v34
	v_add_f32_e32 v8, v38, v36
	s_delay_alu instid0(VALU_DEP_3) | instskip(SKIP_1) | instid1(VALU_DEP_4)
	v_add_f32_e32 v0, v38, v0
	v_mul_u32_u24_e32 v16, 0xb0, v10
	v_mul_f32_e32 v11, 0xbf68dda4, v6
	v_mul_f32_e32 v13, 0xbf4178ce, v6
	s_load_b64 s[2:3], s[2:3], 0x0
	v_dual_add_f32 v0, v30, v0 :: v_dual_mul_f32 v15, 0xbf4178ce, v9
	v_cmp_gt_u32_e64 s0, 11, v3
	v_mul_f32_e32 v17, 0x3e903f40, v9
	s_delay_alu instid0(VALU_DEP_3) | instskip(SKIP_3) | instid1(VALU_DEP_4)
	v_dual_fmamk_f32 v19, v7, 0x3ed4b147, v11 :: v_dual_add_f32 v0, v24, v0
	v_mul_f32_e32 v10, 0xbf0a6770, v6
	v_fma_f32 v11, 0x3ed4b147, v7, -v11
	v_mul_f32_e32 v12, 0xbf7d64f0, v6
	v_dual_fmamk_f32 v43, v7, 0xbf27a4f4, v13 :: v_dual_add_f32 v0, v20, v0
	v_mul_f32_e32 v6, 0xbe903f40, v6
	v_fma_f32 v13, 0xbf27a4f4, v7, -v13
	v_dual_mul_f32 v14, 0xbf68dda4, v9 :: v_dual_add_f32 v19, v19, v28
	s_delay_alu instid0(VALU_DEP_4)
	v_add_f32_e32 v0, v22, v0
	v_add_f32_e32 v11, v11, v28
	v_fmamk_f32 v42, v7, 0xbe11bafb, v12
	v_fma_f32 v12, 0xbe11bafb, v7, -v12
	v_add_f32_e32 v43, v43, v28
	v_fmamk_f32 v44, v7, 0xbf75a155, v6
	v_fma_f32 v6, 0xbf75a155, v7, -v6
	v_add_f32_e32 v42, v42, v28
	v_add_f32_e32 v12, v12, v28
	;; [unrolled: 1-line block ×4, first 2 shown]
	v_fmamk_f32 v18, v7, 0x3f575c64, v10
	v_fma_f32 v10, 0x3f575c64, v7, -v10
	v_dual_add_f32 v0, v26, v0 :: v_dual_fmamk_f32 v7, v8, 0x3ed4b147, v14
	v_fma_f32 v14, 0x3ed4b147, v8, -v14
	s_delay_alu instid0(VALU_DEP_4) | instskip(NEXT) | instid1(VALU_DEP_4)
	v_add_f32_e32 v18, v18, v28
	v_add_f32_e32 v10, v10, v28
	;; [unrolled: 1-line block ×3, first 2 shown]
	v_fmamk_f32 v28, v8, 0xbf27a4f4, v15
	v_fma_f32 v15, 0xbf27a4f4, v8, -v15
	s_delay_alu instid0(VALU_DEP_1)
	v_dual_add_f32 v0, v32, v0 :: v_dual_add_f32 v11, v15, v11
	v_mul_f32_e32 v15, 0x3f7d64f0, v9
	v_add_f32_e32 v7, v7, v18
	v_add_f32_e32 v10, v14, v10
	v_fmamk_f32 v14, v8, 0xbf75a155, v17
	v_fma_f32 v17, 0xbf75a155, v8, -v17
	s_delay_alu instid0(VALU_DEP_2) | instskip(NEXT) | instid1(VALU_DEP_2)
	v_dual_mul_f32 v9, 0x3f0a6770, v9 :: v_dual_add_f32 v14, v14, v42
	v_dual_add_f32 v12, v17, v12 :: v_dual_sub_f32 v17, v31, v33
	v_add_f32_e32 v0, v36, v0
	s_delay_alu instid0(VALU_DEP_2)
	v_dual_add_f32 v42, v30, v32 :: v_dual_mul_f32 v45, 0xbf7d64f0, v17
	v_add_f32_e32 v18, v28, v19
	v_fmamk_f32 v19, v8, 0xbe11bafb, v15
	v_fma_f32 v15, 0xbe11bafb, v8, -v15
	v_fmamk_f32 v28, v8, 0x3f575c64, v9
	v_fma_f32 v8, 0x3f575c64, v8, -v9
	s_delay_alu instid0(VALU_DEP_4) | instskip(SKIP_4) | instid1(VALU_DEP_2)
	v_dual_add_f32 v0, v34, v0 :: v_dual_add_f32 v19, v19, v43
	v_mul_f32_e32 v43, 0x3f68dda4, v17
	v_add_f32_e32 v9, v15, v13
	v_fmamk_f32 v15, v42, 0xbe11bafb, v45
	v_add_f32_e32 v13, v28, v44
	v_dual_add_f32 v7, v15, v7 :: v_dual_mul_f32 v28, 0x3e903f40, v17
	s_delay_alu instid0(VALU_DEP_1) | instskip(NEXT) | instid1(VALU_DEP_1)
	v_fmamk_f32 v15, v42, 0xbf75a155, v28
	v_dual_add_f32 v15, v15, v18 :: v_dual_mul_f32 v18, 0xbf0a6770, v17
	v_dual_mul_f32 v17, 0xbf4178ce, v17 :: v_dual_add_f32 v6, v8, v6
	v_fma_f32 v8, 0xbe11bafb, v42, -v45
	s_delay_alu instid0(VALU_DEP_1) | instskip(SKIP_2) | instid1(VALU_DEP_1)
	v_add_f32_e32 v8, v8, v10
	v_fmamk_f32 v10, v42, 0x3ed4b147, v43
	v_fma_f32 v43, 0x3ed4b147, v42, -v43
	v_dual_add_f32 v12, v43, v12 :: v_dual_add_f32 v43, v24, v26
	v_fma_f32 v28, 0xbf75a155, v42, -v28
	v_fmamk_f32 v45, v42, 0xbf27a4f4, v17
	v_fma_f32 v17, 0xbf27a4f4, v42, -v17
	s_delay_alu instid0(VALU_DEP_3) | instskip(NEXT) | instid1(VALU_DEP_3)
	v_dual_add_f32 v11, v28, v11 :: v_dual_fmamk_f32 v28, v42, 0x3f575c64, v18
	v_add_f32_e32 v13, v45, v13
	s_delay_alu instid0(VALU_DEP_2) | instskip(SKIP_2) | instid1(VALU_DEP_1)
	v_dual_add_f32 v6, v17, v6 :: v_dual_add_f32 v19, v28, v19
	v_add_f32_e32 v10, v10, v14
	v_sub_f32_e32 v14, v25, v27
	v_mul_f32_e32 v44, 0xbf4178ce, v14
	v_mul_f32_e32 v17, 0xbf0a6770, v14
	v_fma_f32 v18, 0x3f575c64, v42, -v18
	s_delay_alu instid0(VALU_DEP_3) | instskip(NEXT) | instid1(VALU_DEP_2)
	v_fma_f32 v42, 0xbf27a4f4, v43, -v44
	v_dual_add_f32 v9, v18, v9 :: v_dual_fmamk_f32 v18, v43, 0xbf27a4f4, v44
	s_delay_alu instid0(VALU_DEP_4) | instskip(NEXT) | instid1(VALU_DEP_3)
	v_fmamk_f32 v44, v43, 0x3f575c64, v17
	v_add_f32_e32 v8, v42, v8
	v_mul_f32_e32 v28, 0x3f7d64f0, v14
	v_fma_f32 v17, 0x3f575c64, v43, -v17
	s_delay_alu instid0(VALU_DEP_2) | instskip(SKIP_1) | instid1(VALU_DEP_2)
	v_dual_add_f32 v7, v18, v7 :: v_dual_fmamk_f32 v18, v43, 0xbe11bafb, v28
	v_fma_f32 v28, 0xbe11bafb, v43, -v28
	v_add_f32_e32 v15, v18, v15
	s_delay_alu instid0(VALU_DEP_2) | instskip(SKIP_3) | instid1(VALU_DEP_3)
	v_dual_add_f32 v11, v28, v11 :: v_dual_add_f32 v28, v17, v12
	v_mul_f32_e32 v42, 0xbe903f40, v14
	v_sub_f32_e32 v12, v21, v23
	v_mul_f32_e32 v14, 0x3f68dda4, v14
	v_fmamk_f32 v18, v43, 0xbf75a155, v42
	v_fma_f32 v17, 0xbf75a155, v43, -v42
	v_add_f32_e32 v42, v20, v22
	s_delay_alu instid0(VALU_DEP_3)
	v_dual_add_f32 v18, v18, v19 :: v_dual_fmamk_f32 v19, v43, 0x3ed4b147, v14
	v_add_f32_e32 v10, v44, v10
	v_mul_f32_e32 v44, 0xbe903f40, v12
	v_fma_f32 v14, 0x3ed4b147, v43, -v14
	v_add_f32_e32 v43, v17, v9
	v_mul_f32_e32 v9, 0x3f0a6770, v12
	v_add_f32_e32 v13, v19, v13
	v_fmamk_f32 v17, v42, 0xbf75a155, v44
	v_add_f32_e32 v19, v14, v6
	v_fma_f32 v44, 0xbf75a155, v42, -v44
	v_fmamk_f32 v45, v42, 0x3f575c64, v9
	v_mul_f32_e32 v14, 0xbf4178ce, v12
	v_add_f32_e32 v6, v17, v7
	v_fma_f32 v17, 0x3f575c64, v42, -v9
	v_add_f32_e32 v9, v44, v8
	v_add_f32_e32 v7, v45, v15
	v_mul_f32_e32 v15, 0x3f68dda4, v12
	v_fmamk_f32 v46, v42, 0xbf27a4f4, v14
	v_dual_add_f32 v8, v17, v11 :: v_dual_mul_f32 v11, 0xbf7d64f0, v12
	v_fma_f32 v44, 0xbf27a4f4, v42, -v14
	s_delay_alu instid0(VALU_DEP_4)
	v_fmamk_f32 v12, v42, 0x3ed4b147, v15
	v_mad_u32_u24 v17, v3, 44, 0
	v_fma_f32 v14, 0x3ed4b147, v42, -v15
	v_fmamk_f32 v15, v42, 0xbe11bafb, v11
	v_fma_f32 v42, 0xbe11bafb, v42, -v11
	v_add_f32_e32 v10, v46, v10
	v_add_f32_e32 v11, v12, v18
	v_lshl_add_u32 v45, v16, 2, v17
	v_add_f32_e32 v12, v14, v43
	v_dual_add_f32 v14, v15, v13 :: v_dual_add_f32 v15, v42, v19
	v_add_f32_e32 v13, v44, v28
	v_lshlrev_b32_e32 v43, 2, v16
	v_lshlrev_b32_e32 v44, 2, v3
	ds_store_2addr_b32 v45, v0, v6 offset1:1
	ds_store_2addr_b32 v45, v7, v10 offset0:2 offset1:3
	ds_store_2addr_b32 v45, v11, v14 offset0:4 offset1:5
	;; [unrolled: 1-line block ×4, first 2 shown]
	ds_store_b32 v45, v9 offset:40
	global_wb scope:SCOPE_SE
	s_wait_dscnt 0x0
	s_wait_kmcnt 0x0
	s_barrier_signal -1
	s_barrier_wait -1
	global_inv scope:SCOPE_SE
                                        ; implicit-def: $vgpr16
                                        ; implicit-def: $vgpr18
                                        ; implicit-def: $vgpr42
	s_and_saveexec_b32 s1, s0
	s_cbranch_execz .LBB0_15
; %bb.14:
	v_mul_i32_i24_e32 v0, 0xffffffd8, v3
	s_delay_alu instid0(VALU_DEP_1)
	v_add3_u32 v28, v17, v0, v43
	v_add3_u32 v0, 0, v43, v44
	ds_load_2addr_b32 v[6:7], v28 offset0:11 offset1:22
	ds_load_2addr_b32 v[10:11], v28 offset0:33 offset1:44
	;; [unrolled: 1-line block ×7, first 2 shown]
	ds_load_b32 v0, v0
	ds_load_b32 v42, v28 offset:660
.LBB0_15:
	s_wait_alu 0xfffe
	s_or_b32 exec_lo, exec_lo, s1
	v_sub_f32_e32 v34, v40, v34
	v_add_f32_e32 v28, v41, v29
	v_dual_add_f32 v40, v41, v35 :: v_dual_add_f32 v41, v39, v37
	s_delay_alu instid0(VALU_DEP_3)
	v_dual_sub_f32 v36, v38, v36 :: v_dual_mul_f32 v47, 0xbf4178ce, v34
	v_sub_f32_e32 v30, v30, v32
	v_sub_f32_e32 v20, v20, v22
	;; [unrolled: 1-line block ×3, first 2 shown]
	global_wb scope:SCOPE_SE
	s_wait_dscnt 0x0
	v_fma_f32 v54, 0xbf27a4f4, v40, -v47
	v_fmac_f32_e32 v47, 0xbf27a4f4, v40
	v_mul_f32_e32 v46, 0xbf7d64f0, v34
	v_mul_f32_e32 v26, 0xbf4178ce, v30
	s_barrier_signal -1
	v_add_f32_e32 v54, v54, v29
	s_barrier_wait -1
	v_fma_f32 v53, 0xbe11bafb, v40, -v46
	v_dual_add_f32 v28, v39, v28 :: v_dual_mul_f32 v39, 0xbf68dda4, v34
	global_inv scope:SCOPE_SE
	v_add_f32_e32 v53, v53, v29
	v_fma_f32 v52, 0x3ed4b147, v40, -v39
	v_fmac_f32_e32 v39, 0x3ed4b147, v40
	v_mul_f32_e32 v38, 0xbf0a6770, v34
	v_mul_f32_e32 v34, 0xbe903f40, v34
	s_delay_alu instid0(VALU_DEP_4) | instskip(NEXT) | instid1(VALU_DEP_4)
	v_add_f32_e32 v52, v52, v29
	v_add_f32_e32 v39, v39, v29
	s_delay_alu instid0(VALU_DEP_4)
	v_fma_f32 v51, 0x3f575c64, v40, -v38
	v_fmac_f32_e32 v38, 0x3f575c64, v40
	v_fma_f32 v55, 0xbf75a155, v40, -v34
	v_fmac_f32_e32 v34, 0xbf75a155, v40
	v_add_f32_e32 v28, v31, v28
	v_add_f32_e32 v51, v51, v29
	v_add_f32_e32 v31, v31, v33
	v_dual_mul_f32 v49, 0xbf4178ce, v36 :: v_dual_add_f32 v38, v38, v29
	s_delay_alu instid0(VALU_DEP_4) | instskip(SKIP_1) | instid1(VALU_DEP_3)
	v_add_f32_e32 v28, v25, v28
	v_dual_mul_f32 v50, 0x3e903f40, v36 :: v_dual_add_f32 v25, v25, v27
	v_fma_f32 v56, 0xbf27a4f4, v41, -v49
	s_delay_alu instid0(VALU_DEP_3) | instskip(SKIP_1) | instid1(VALU_DEP_2)
	v_dual_fmac_f32 v49, 0xbf27a4f4, v41 :: v_dual_add_f32 v28, v21, v28
	v_dual_mul_f32 v48, 0xbf68dda4, v36 :: v_dual_add_f32 v21, v21, v23
	v_dual_add_f32 v39, v49, v39 :: v_dual_add_f32 v28, v23, v28
	v_mul_f32_e32 v23, 0xbe903f40, v20
	s_delay_alu instid0(VALU_DEP_2) | instskip(SKIP_1) | instid1(VALU_DEP_2)
	v_add_f32_e32 v28, v27, v28
	v_mul_f32_e32 v27, 0xbf4178ce, v24
	v_dual_add_f32 v28, v33, v28 :: v_dual_mul_f32 v33, 0xbf7d64f0, v30
	s_delay_alu instid0(VALU_DEP_1) | instskip(SKIP_4) | instid1(VALU_DEP_4)
	v_dual_add_f32 v28, v37, v28 :: v_dual_add_f32 v37, v47, v29
	v_fmac_f32_e32 v46, 0xbe11bafb, v40
	v_fma_f32 v40, 0x3ed4b147, v41, -v48
	v_fmac_f32_e32 v48, 0x3ed4b147, v41
	v_add_f32_e32 v47, v55, v29
	v_add_f32_e32 v46, v46, v29
	v_dual_add_f32 v29, v34, v29 :: v_dual_add_f32 v34, v35, v28
	s_delay_alu instid0(VALU_DEP_4)
	v_add_f32_e32 v28, v48, v38
	v_mul_f32_e32 v48, 0x3f7d64f0, v36
	v_mul_f32_e32 v36, 0x3f0a6770, v36
	v_fma_f32 v35, 0xbf75a155, v41, -v50
	v_add_f32_e32 v40, v40, v51
	v_add_f32_e32 v38, v56, v52
	v_fma_f32 v32, 0xbe11bafb, v41, -v48
	v_fmac_f32_e32 v48, 0xbe11bafb, v41
	v_fma_f32 v49, 0x3f575c64, v41, -v36
	v_add_f32_e32 v35, v35, v53
	v_fmac_f32_e32 v50, 0xbf75a155, v41
	v_fmac_f32_e32 v36, 0x3f575c64, v41
	v_add_f32_e32 v37, v48, v37
	v_add_f32_e32 v41, v49, v47
	v_fma_f32 v47, 0xbe11bafb, v31, -v33
	s_delay_alu instid0(VALU_DEP_4) | instskip(SKIP_2) | instid1(VALU_DEP_4)
	v_dual_mul_f32 v48, 0x3e903f40, v30 :: v_dual_add_f32 v29, v36, v29
	v_fmac_f32_e32 v33, 0xbe11bafb, v31
	v_mul_f32_e32 v36, 0x3f68dda4, v30
	v_add_f32_e32 v40, v47, v40
	s_delay_alu instid0(VALU_DEP_4) | instskip(NEXT) | instid1(VALU_DEP_4)
	v_fma_f32 v47, 0xbf75a155, v31, -v48
	v_add_f32_e32 v28, v33, v28
	s_delay_alu instid0(VALU_DEP_4) | instskip(SKIP_1) | instid1(VALU_DEP_4)
	v_fma_f32 v33, 0x3ed4b147, v31, -v36
	v_fmac_f32_e32 v36, 0x3ed4b147, v31
	v_add_f32_e32 v38, v47, v38
	v_mul_f32_e32 v47, 0xbf0a6770, v30
	s_delay_alu instid0(VALU_DEP_4) | instskip(SKIP_1) | instid1(VALU_DEP_3)
	v_dual_add_f32 v46, v50, v46 :: v_dual_add_f32 v33, v33, v35
	v_add_f32_e32 v32, v32, v54
	v_fma_f32 v30, 0x3f575c64, v31, -v47
	s_delay_alu instid0(VALU_DEP_1) | instskip(NEXT) | instid1(VALU_DEP_1)
	v_dual_fmac_f32 v47, 0x3f575c64, v31 :: v_dual_add_f32 v30, v30, v32
	v_dual_add_f32 v32, v47, v37 :: v_dual_mul_f32 v37, 0x3f7d64f0, v24
	v_add_f32_e32 v35, v36, v46
	v_fma_f32 v36, 0xbf27a4f4, v31, -v26
	v_fmac_f32_e32 v26, 0xbf27a4f4, v31
	s_delay_alu instid0(VALU_DEP_2) | instskip(NEXT) | instid1(VALU_DEP_2)
	v_add_f32_e32 v36, v36, v41
	v_add_f32_e32 v26, v26, v29
	v_fmac_f32_e32 v48, 0xbf75a155, v31
	v_fma_f32 v31, 0xbf27a4f4, v25, -v27
	v_fmac_f32_e32 v27, 0xbf27a4f4, v25
	s_delay_alu instid0(VALU_DEP_2) | instskip(SKIP_1) | instid1(VALU_DEP_3)
	v_add_f32_e32 v29, v31, v40
	v_mul_f32_e32 v31, 0xbf0a6770, v24
	v_add_f32_e32 v27, v27, v28
	v_mul_f32_e32 v28, 0xbe903f40, v24
	v_mul_f32_e32 v24, 0x3f68dda4, v24
	v_fma_f32 v40, 0xbe11bafb, v25, -v37
	v_fma_f32 v41, 0x3f575c64, v25, -v31
	v_fmac_f32_e32 v31, 0x3f575c64, v25
	v_fmac_f32_e32 v37, 0xbe11bafb, v25
	v_fma_f32 v22, 0x3ed4b147, v25, -v24
	v_fmac_f32_e32 v24, 0x3ed4b147, v25
	v_add_f32_e32 v33, v41, v33
	v_add_f32_e32 v31, v31, v35
	s_delay_alu instid0(VALU_DEP_3) | instskip(SKIP_1) | instid1(VALU_DEP_1)
	v_add_f32_e32 v35, v24, v26
	v_dual_add_f32 v39, v48, v39 :: v_dual_mul_f32 v26, 0xbf4178ce, v20
	v_add_f32_e32 v37, v37, v39
	v_fma_f32 v39, 0xbf75a155, v25, -v28
	v_fmac_f32_e32 v28, 0xbf75a155, v25
	v_fma_f32 v25, 0xbf75a155, v21, -v23
	v_fmac_f32_e32 v23, 0xbf75a155, v21
	s_delay_alu instid0(VALU_DEP_1) | instskip(SKIP_2) | instid1(VALU_DEP_1)
	v_dual_add_f32 v24, v25, v29 :: v_dual_add_f32 v23, v23, v27
	v_fma_f32 v27, 0xbf27a4f4, v21, -v26
	v_fmac_f32_e32 v26, 0xbf27a4f4, v21
	v_dual_add_f32 v29, v26, v31 :: v_dual_add_f32 v28, v28, v32
	v_add_f32_e32 v32, v22, v36
	v_mul_f32_e32 v22, 0x3f0a6770, v20
	s_delay_alu instid0(VALU_DEP_1) | instskip(SKIP_1) | instid1(VALU_DEP_1)
	v_fma_f32 v36, 0x3f575c64, v21, -v22
	v_fmac_f32_e32 v22, 0x3f575c64, v21
	v_dual_add_f32 v22, v22, v37 :: v_dual_mul_f32 v37, 0xbf7d64f0, v20
	v_add_f32_e32 v38, v40, v38
	s_delay_alu instid0(VALU_DEP_1)
	v_dual_add_f32 v25, v36, v38 :: v_dual_mul_f32 v36, 0x3f68dda4, v20
	v_add_f32_e32 v30, v39, v30
	v_add_f32_e32 v20, v27, v33
	v_fma_f32 v33, 0xbe11bafb, v21, -v37
	v_fmac_f32_e32 v37, 0xbe11bafb, v21
	v_fma_f32 v27, 0x3ed4b147, v21, -v36
	v_fmac_f32_e32 v36, 0x3ed4b147, v21
	s_delay_alu instid0(VALU_DEP_4) | instskip(NEXT) | instid1(VALU_DEP_2)
	v_add_f32_e32 v26, v33, v32
                                        ; implicit-def: $vgpr32
	v_dual_add_f32 v21, v27, v30 :: v_dual_add_f32 v28, v36, v28
	v_add_f32_e32 v27, v37, v35
	ds_store_2addr_b32 v45, v34, v24 offset1:1
	ds_store_2addr_b32 v45, v25, v20 offset0:2 offset1:3
	ds_store_2addr_b32 v45, v21, v26 offset0:4 offset1:5
	;; [unrolled: 1-line block ×4, first 2 shown]
	ds_store_b32 v45, v23 offset:40
	global_wb scope:SCOPE_SE
	s_wait_dscnt 0x0
	s_barrier_signal -1
	s_barrier_wait -1
	global_inv scope:SCOPE_SE
                                        ; implicit-def: $vgpr30
                                        ; implicit-def: $vgpr35
	s_and_saveexec_b32 s1, s0
	s_cbranch_execz .LBB0_17
; %bb.16:
	v_add3_u32 v35, 0, v44, v43
	v_add3_u32 v34, 0, v43, v44
	ds_load_2addr_b32 v[24:25], v35 offset0:11 offset1:22
	ds_load_2addr_b32 v[20:21], v35 offset0:33 offset1:44
	;; [unrolled: 1-line block ×7, first 2 shown]
	ds_load_b32 v34, v34
	ds_load_b32 v35, v35 offset:660
.LBB0_17:
	s_wait_alu 0xfffe
	s_or_b32 exec_lo, exec_lo, s1
	v_cmp_gt_u32_e64 s1, 11, v3
	s_delay_alu instid0(VALU_DEP_1)
	s_and_b32 s1, vcc_lo, s1
	s_wait_alu 0xfffe
	s_and_saveexec_b32 s4, s1
	s_cbranch_execz .LBB0_19
; %bb.18:
	v_add_nc_u32_e32 v36, -11, v3
	v_mov_b32_e32 v40, 0
	v_mul_lo_u32 v41, s3, v4
	v_mul_lo_u32 v69, s2, v5
	v_mad_co_u64_u32 v[4:5], null, s2, v4, 0
	v_cndmask_b32_e64 v36, v36, v3, s0
	v_lshlrev_b64_e32 v[1:2], 3, v[1:2]
	s_delay_alu instid0(VALU_DEP_2) | instskip(NEXT) | instid1(VALU_DEP_4)
	v_mul_i32_i24_e32 v39, 15, v36
	v_add3_u32 v5, v5, v69, v41
	s_delay_alu instid0(VALU_DEP_2) | instskip(NEXT) | instid1(VALU_DEP_2)
	v_lshlrev_b64_e32 v[36:37], 3, v[39:40]
	v_lshlrev_b64_e32 v[69:70], 3, v[4:5]
	s_delay_alu instid0(VALU_DEP_2) | instskip(SKIP_1) | instid1(VALU_DEP_3)
	v_add_co_u32 v67, vcc_lo, s8, v36
	s_wait_alu 0xfffd
	v_add_co_ci_u32_e32 v68, vcc_lo, s9, v37, vcc_lo
	s_delay_alu instid0(VALU_DEP_3)
	v_add_co_u32 v5, vcc_lo, s6, v69
	s_clause 0x7
	global_load_b128 v[36:39], v[67:68], off
	global_load_b128 v[43:46], v[67:68], off offset:64
	global_load_b128 v[47:50], v[67:68], off offset:32
	global_load_b128 v[51:54], v[67:68], off offset:96
	global_load_b128 v[55:58], v[67:68], off offset:48
	global_load_b128 v[59:62], v[67:68], off offset:16
	global_load_b128 v[63:66], v[67:68], off offset:80
	global_load_b64 v[67:68], v[67:68], off offset:112
	v_mov_b32_e32 v4, v40
	s_wait_alu 0xfffd
	v_add_co_ci_u32_e32 v40, vcc_lo, s7, v70, vcc_lo
	v_add_co_u32 v1, vcc_lo, v5, v1
	s_wait_alu 0xfffd
	s_delay_alu instid0(VALU_DEP_2)
	v_add_co_ci_u32_e32 v2, vcc_lo, v40, v2, vcc_lo
	s_wait_loadcnt 0x7
	v_mul_f32_e32 v75, v6, v37
	s_wait_dscnt 0x8
	v_mul_f32_e32 v37, v24, v37
	s_wait_loadcnt_dscnt 0x506
	v_mul_f32_e32 v5, v27, v50
	s_wait_loadcnt_dscnt 0x302
	v_dual_mul_f32 v40, v33, v54 :: v_dual_mul_f32 v73, v28, v56
	v_mul_f32_e32 v41, v13, v58
	v_lshlrev_b64_e32 v[3:4], 3, v[3:4]
	v_dual_mul_f32 v54, v19, v54 :: v_dual_mul_f32 v77, v26, v48
	s_wait_loadcnt 0x2
	v_mul_f32_e32 v71, v10, v60
	s_wait_loadcnt_dscnt 0x0
	v_mul_f32_e32 v74, v35, v68
	v_mul_f32_e32 v60, v20, v60
	v_add_co_u32 v1, vcc_lo, v1, v3
	v_fmac_f32_e32 v77, v14, v47
	s_wait_alu 0xfffd
	v_add_co_ci_u32_e32 v2, vcc_lo, v2, v4, vcc_lo
	v_dual_mul_f32 v3, v7, v39 :: v_dual_mul_f32 v4, v9, v46
	v_dual_mul_f32 v69, v21, v62 :: v_dual_mul_f32 v72, v16, v64
	v_dual_mul_f32 v70, v31, v66 :: v_dual_mul_f32 v39, v25, v39
	s_delay_alu instid0(VALU_DEP_3) | instskip(NEXT) | instid1(VALU_DEP_4)
	v_fma_f32 v3, v25, v38, -v3
	v_fma_f32 v4, v23, v45, -v4
	v_mul_f32_e32 v50, v15, v50
	v_mul_f32_e32 v46, v23, v46
	v_dual_mul_f32 v76, v8, v44 :: v_dual_fmac_f32 v5, v15, v49
	v_dual_mul_f32 v78, v32, v52 :: v_dual_fmac_f32 v69, v11, v61
	v_dual_mul_f32 v68, v42, v68 :: v_dual_fmac_f32 v73, v12, v55
	v_dual_mul_f32 v62, v11, v62 :: v_dual_fmac_f32 v37, v6, v36
	v_dual_mul_f32 v25, v17, v66 :: v_dual_sub_f32 v4, v3, v4
	v_fmac_f32_e32 v60, v10, v59
	v_fmac_f32_e32 v40, v19, v53
	;; [unrolled: 1-line block ×3, first 2 shown]
	v_mul_f32_e32 v44, v22, v44
	v_dual_mul_f32 v56, v12, v56 :: v_dual_fmac_f32 v39, v7, v38
	v_fma_f32 v24, v24, v36, -v75
	v_fma_f32 v12, v22, v43, -v76
	;; [unrolled: 1-line block ×3, first 2 shown]
	v_dual_sub_f32 v21, v73, v74 :: v_dual_fmac_f32 v44, v8, v43
	v_fmac_f32_e32 v78, v18, v51
	v_fma_f32 v15, v29, v57, -v41
	v_mul_f32_e32 v58, v29, v58
	v_fma_f32 v8, v31, v65, -v25
	v_sub_f32_e32 v12, v24, v12
	v_sub_f32_e32 v25, v37, v44
	;; [unrolled: 1-line block ×3, first 2 shown]
	v_fmac_f32_e32 v70, v17, v65
	v_fma_f32 v11, v27, v49, -v50
	v_fma_f32 v17, v33, v53, -v54
	v_mul_f32_e32 v48, v14, v48
	v_sub_f32_e32 v15, v34, v15
	v_sub_f32_e32 v31, v12, v22
	v_fma_f32 v22, v77, 2.0, -v22
	v_sub_f32_e32 v17, v11, v17
	v_fmac_f32_e32 v58, v13, v57
	v_dual_mul_f32 v64, v30, v64 :: v_dual_sub_f32 v19, v69, v70
	v_fma_f32 v7, v20, v59, -v71
	v_fma_f32 v10, v26, v47, -v48
	v_sub_f32_e32 v8, v6, v8
	v_sub_f32_e32 v26, v0, v58
	v_fmac_f32_e32 v46, v9, v45
	v_fma_f32 v9, v30, v63, -v72
	v_mul_f32_e32 v52, v18, v52
	v_fmac_f32_e32 v64, v16, v63
	v_fma_f32 v18, v35, v67, -v68
	v_add_f32_e32 v35, v26, v8
	v_sub_f32_e32 v9, v7, v9
	v_fma_f32 v16, v32, v51, -v52
	v_fma_f32 v14, v28, v55, -v56
	v_fma_f32 v6, v6, 2.0, -v8
	v_sub_f32_e32 v28, v15, v19
	v_fma_f32 v11, v11, 2.0, -v17
	v_sub_f32_e32 v16, v10, v16
	v_fma_f32 v0, v0, 2.0, -v26
	v_fma_f32 v34, v34, 2.0, -v15
	;; [unrolled: 1-line block ×3, first 2 shown]
	s_delay_alu instid0(VALU_DEP_4) | instskip(SKIP_2) | instid1(VALU_DEP_1)
	v_add_f32_e32 v33, v25, v16
	v_sub_f32_e32 v23, v60, v64
	v_sub_f32_e32 v13, v5, v40
	v_fma_f32 v5, v5, 2.0, -v13
	v_sub_f32_e32 v20, v39, v46
	s_delay_alu instid0(VALU_DEP_1) | instskip(NEXT) | instid1(VALU_DEP_1)
	v_fma_f32 v8, v39, 2.0, -v20
	v_sub_f32_e32 v5, v8, v5
	v_add_f32_e32 v29, v20, v17
	v_sub_f32_e32 v27, v4, v13
	v_fma_f32 v17, v69, 2.0, -v19
	v_sub_f32_e32 v18, v14, v18
	v_fma_f32 v3, v3, 2.0, -v4
	v_fma_f32 v20, v20, 2.0, -v29
	v_fmamk_f32 v19, v27, 0x3f3504f3, v28
	s_delay_alu instid0(VALU_DEP_4) | instskip(SKIP_2) | instid1(VALU_DEP_4)
	v_dual_sub_f32 v17, v0, v17 :: v_dual_add_f32 v32, v23, v18
	v_fma_f32 v13, v24, 2.0, -v12
	v_fma_f32 v39, v12, 2.0, -v31
	v_fmac_f32_e32 v19, 0xbf3504f3, v29
	v_fma_f32 v10, v10, 2.0, -v16
	v_fma_f32 v16, v60, 2.0, -v23
	v_fma_f32 v12, v23, 2.0, -v32
	v_fma_f32 v23, v25, 2.0, -v33
	v_sub_f32_e32 v30, v9, v21
	v_fma_f32 v14, v14, 2.0, -v18
	v_fma_f32 v21, v73, 2.0, -v21
	;; [unrolled: 1-line block ×3, first 2 shown]
	v_fmamk_f32 v41, v12, 0xbf3504f3, v23
	v_fma_f32 v9, v9, 2.0, -v30
	v_sub_f32_e32 v38, v34, v6
	v_sub_f32_e32 v10, v13, v10
	v_dual_sub_f32 v6, v16, v21 :: v_dual_sub_f32 v21, v18, v22
	s_delay_alu instid0(VALU_DEP_4) | instskip(NEXT) | instid1(VALU_DEP_3)
	v_dual_fmac_f32 v41, 0x3f3504f3, v9 :: v_dual_sub_f32 v14, v7, v14
	v_fma_f32 v43, v13, 2.0, -v10
	v_fmamk_f32 v37, v29, 0x3f3504f3, v35
	v_sub_f32_e32 v11, v3, v11
	v_fma_f32 v18, v18, 2.0, -v21
	v_fma_f32 v7, v7, 2.0, -v14
	v_add_f32_e32 v29, v14, v21
	v_fmamk_f32 v24, v30, 0x3f3504f3, v31
	v_fmac_f32_e32 v37, 0x3f3504f3, v27
	v_fma_f32 v25, v26, 2.0, -v35
	v_sub_f32_e32 v44, v43, v7
	v_fmamk_f32 v36, v32, 0x3f3504f3, v33
	v_fma_f32 v21, v21, 2.0, -v29
	v_fma_f32 v8, v8, 2.0, -v5
	;; [unrolled: 1-line block ×3, first 2 shown]
	v_sub_f32_e32 v26, v38, v5
	v_fmac_f32_e32 v36, 0x3f3504f3, v30
	v_add_f32_e32 v30, v11, v17
	v_fma_f32 v11, v3, 2.0, -v11
	v_fma_f32 v22, v4, 2.0, -v27
	v_fmamk_f32 v42, v20, 0xbf3504f3, v25
	v_fmamk_f32 v3, v36, 0x3f6c835e, v37
	v_fma_f32 v46, v17, 2.0, -v30
	v_fmamk_f32 v40, v9, 0xbf3504f3, v39
	v_fma_f32 v34, v34, 2.0, -v38
	v_fmac_f32_e32 v42, 0x3f3504f3, v22
	v_fma_f32 v0, v0, 2.0, -v17
	v_fmamk_f32 v13, v21, 0xbf3504f3, v46
	v_fmamk_f32 v5, v29, 0x3f3504f3, v30
	v_fmac_f32_e32 v24, 0xbf3504f3, v32
	v_fmac_f32_e32 v40, 0xbf3504f3, v12
	v_fmamk_f32 v7, v41, 0x3ec3ef15, v42
	v_fma_f32 v47, v25, 2.0, -v42
	s_delay_alu instid0(VALU_DEP_4)
	v_fmac_f32_e32 v3, 0x3ec3ef15, v24
	v_sub_f32_e32 v27, v10, v6
	v_fma_f32 v15, v15, 2.0, -v28
	v_fmamk_f32 v4, v24, 0x3f6c835e, v19
	v_fma_f32 v28, v28, 2.0, -v19
	v_fma_f32 v31, v31, 2.0, -v24
	;; [unrolled: 1-line block ×3, first 2 shown]
	v_fmamk_f32 v32, v22, 0xbf3504f3, v15
	v_fmac_f32_e32 v5, 0x3f3504f3, v27
	v_fma_f32 v16, v16, 2.0, -v6
	v_fmamk_f32 v12, v31, 0xbec3ef15, v28
	v_fmac_f32_e32 v13, 0x3f3504f3, v45
	v_fma_f32 v33, v33, 2.0, -v36
	v_fmac_f32_e32 v32, 0xbf3504f3, v20
	v_dual_sub_f32 v20, v34, v11 :: v_dual_fmac_f32 v7, 0x3f6c835e, v40
	s_delay_alu instid0(VALU_DEP_3)
	v_dual_fmac_f32 v4, 0xbec3ef15, v36 :: v_dual_fmamk_f32 v11, v33, 0xbec3ef15, v35
	v_fmamk_f32 v6, v27, 0x3f3504f3, v26
	v_fma_f32 v38, v38, 2.0, -v26
	v_sub_f32_e32 v16, v18, v16
	v_fma_f32 v36, v15, 2.0, -v32
	v_fmac_f32_e32 v11, 0x3f6c835e, v31
	v_fmac_f32_e32 v6, 0xbf3504f3, v29
	v_fmamk_f32 v14, v45, 0xbf3504f3, v38
	v_fma_f32 v29, v39, 2.0, -v40
	v_fma_f32 v39, v23, 2.0, -v41
	v_sub_f32_e32 v22, v0, v8
	v_fmamk_f32 v8, v40, 0x3ec3ef15, v32
	v_fmac_f32_e32 v14, 0xbf3504f3, v21
	s_delay_alu instid0(VALU_DEP_4)
	v_dual_sub_f32 v10, v20, v16 :: v_dual_fmamk_f32 v21, v39, 0xbf6c835e, v47
	v_fma_f32 v34, v34, 2.0, -v20
	v_fma_f32 v0, v0, 2.0, -v22
	;; [unrolled: 1-line block ×4, first 2 shown]
	v_fmac_f32_e32 v21, 0x3ec3ef15, v29
	v_add_f32_e32 v9, v22, v44
	v_fma_f32 v23, v43, 2.0, -v44
	v_fmac_f32_e32 v8, 0xbf6c835e, v41
	v_fma_f32 v20, v20, 2.0, -v10
	v_fmac_f32_e32 v12, 0xbf6c835e, v33
	v_fma_f32 v19, v22, 2.0, -v9
	v_fmamk_f32 v22, v29, 0xbf6c835e, v36
	v_dual_sub_f32 v24, v34, v23 :: v_dual_sub_f32 v23, v0, v25
	v_fma_f32 v18, v26, 2.0, -v6
	v_fma_f32 v26, v32, 2.0, -v8
	s_delay_alu instid0(VALU_DEP_4)
	v_fmac_f32_e32 v22, 0xbec3ef15, v39
	v_fma_f32 v25, v42, 2.0, -v7
	v_fma_f32 v17, v30, 2.0, -v5
	;; [unrolled: 1-line block ×11, first 2 shown]
	s_clause 0xf
	global_store_b64 v[1:2], v[19:20], off offset:352
	global_store_b64 v[1:2], v[25:26], off offset:440
	;; [unrolled: 1-line block ×8, first 2 shown]
	global_store_b64 v[1:2], v[31:32], off
	global_store_b64 v[1:2], v[33:34], off offset:88
	global_store_b64 v[1:2], v[29:30], off offset:176
	;; [unrolled: 1-line block ×7, first 2 shown]
.LBB0_19:
	s_nop 0
	s_sendmsg sendmsg(MSG_DEALLOC_VGPRS)
	s_endpgm
	.section	.rodata,"a",@progbits
	.p2align	6, 0x0
	.amdhsa_kernel fft_rtc_back_len176_factors_11_16_wgs_64_tpt_16_halfLds_sp_op_CI_CI_unitstride_sbrr_dirReg
		.amdhsa_group_segment_fixed_size 0
		.amdhsa_private_segment_fixed_size 0
		.amdhsa_kernarg_size 104
		.amdhsa_user_sgpr_count 2
		.amdhsa_user_sgpr_dispatch_ptr 0
		.amdhsa_user_sgpr_queue_ptr 0
		.amdhsa_user_sgpr_kernarg_segment_ptr 1
		.amdhsa_user_sgpr_dispatch_id 0
		.amdhsa_user_sgpr_private_segment_size 0
		.amdhsa_wavefront_size32 1
		.amdhsa_uses_dynamic_stack 0
		.amdhsa_enable_private_segment 0
		.amdhsa_system_sgpr_workgroup_id_x 1
		.amdhsa_system_sgpr_workgroup_id_y 0
		.amdhsa_system_sgpr_workgroup_id_z 0
		.amdhsa_system_sgpr_workgroup_info 0
		.amdhsa_system_vgpr_workitem_id 0
		.amdhsa_next_free_vgpr 79
		.amdhsa_next_free_sgpr 39
		.amdhsa_reserve_vcc 1
		.amdhsa_float_round_mode_32 0
		.amdhsa_float_round_mode_16_64 0
		.amdhsa_float_denorm_mode_32 3
		.amdhsa_float_denorm_mode_16_64 3
		.amdhsa_fp16_overflow 0
		.amdhsa_workgroup_processor_mode 1
		.amdhsa_memory_ordered 1
		.amdhsa_forward_progress 0
		.amdhsa_round_robin_scheduling 0
		.amdhsa_exception_fp_ieee_invalid_op 0
		.amdhsa_exception_fp_denorm_src 0
		.amdhsa_exception_fp_ieee_div_zero 0
		.amdhsa_exception_fp_ieee_overflow 0
		.amdhsa_exception_fp_ieee_underflow 0
		.amdhsa_exception_fp_ieee_inexact 0
		.amdhsa_exception_int_div_zero 0
	.end_amdhsa_kernel
	.text
.Lfunc_end0:
	.size	fft_rtc_back_len176_factors_11_16_wgs_64_tpt_16_halfLds_sp_op_CI_CI_unitstride_sbrr_dirReg, .Lfunc_end0-fft_rtc_back_len176_factors_11_16_wgs_64_tpt_16_halfLds_sp_op_CI_CI_unitstride_sbrr_dirReg
                                        ; -- End function
	.section	.AMDGPU.csdata,"",@progbits
; Kernel info:
; codeLenInByte = 6044
; NumSgprs: 41
; NumVgprs: 79
; ScratchSize: 0
; MemoryBound: 0
; FloatMode: 240
; IeeeMode: 1
; LDSByteSize: 0 bytes/workgroup (compile time only)
; SGPRBlocks: 5
; VGPRBlocks: 9
; NumSGPRsForWavesPerEU: 41
; NumVGPRsForWavesPerEU: 79
; Occupancy: 16
; WaveLimiterHint : 1
; COMPUTE_PGM_RSRC2:SCRATCH_EN: 0
; COMPUTE_PGM_RSRC2:USER_SGPR: 2
; COMPUTE_PGM_RSRC2:TRAP_HANDLER: 0
; COMPUTE_PGM_RSRC2:TGID_X_EN: 1
; COMPUTE_PGM_RSRC2:TGID_Y_EN: 0
; COMPUTE_PGM_RSRC2:TGID_Z_EN: 0
; COMPUTE_PGM_RSRC2:TIDIG_COMP_CNT: 0
	.text
	.p2alignl 7, 3214868480
	.fill 96, 4, 3214868480
	.type	__hip_cuid_2f14d3d809be2658,@object ; @__hip_cuid_2f14d3d809be2658
	.section	.bss,"aw",@nobits
	.globl	__hip_cuid_2f14d3d809be2658
__hip_cuid_2f14d3d809be2658:
	.byte	0                               ; 0x0
	.size	__hip_cuid_2f14d3d809be2658, 1

	.ident	"AMD clang version 19.0.0git (https://github.com/RadeonOpenCompute/llvm-project roc-6.4.0 25133 c7fe45cf4b819c5991fe208aaa96edf142730f1d)"
	.section	".note.GNU-stack","",@progbits
	.addrsig
	.addrsig_sym __hip_cuid_2f14d3d809be2658
	.amdgpu_metadata
---
amdhsa.kernels:
  - .args:
      - .actual_access:  read_only
        .address_space:  global
        .offset:         0
        .size:           8
        .value_kind:     global_buffer
      - .offset:         8
        .size:           8
        .value_kind:     by_value
      - .actual_access:  read_only
        .address_space:  global
        .offset:         16
        .size:           8
        .value_kind:     global_buffer
      - .actual_access:  read_only
        .address_space:  global
        .offset:         24
        .size:           8
        .value_kind:     global_buffer
      - .actual_access:  read_only
        .address_space:  global
        .offset:         32
        .size:           8
        .value_kind:     global_buffer
      - .offset:         40
        .size:           8
        .value_kind:     by_value
      - .actual_access:  read_only
        .address_space:  global
        .offset:         48
        .size:           8
        .value_kind:     global_buffer
      - .actual_access:  read_only
        .address_space:  global
        .offset:         56
        .size:           8
        .value_kind:     global_buffer
      - .offset:         64
        .size:           4
        .value_kind:     by_value
      - .actual_access:  read_only
        .address_space:  global
        .offset:         72
        .size:           8
        .value_kind:     global_buffer
      - .actual_access:  read_only
        .address_space:  global
        .offset:         80
        .size:           8
        .value_kind:     global_buffer
      - .actual_access:  read_only
        .address_space:  global
        .offset:         88
        .size:           8
        .value_kind:     global_buffer
      - .actual_access:  write_only
        .address_space:  global
        .offset:         96
        .size:           8
        .value_kind:     global_buffer
    .group_segment_fixed_size: 0
    .kernarg_segment_align: 8
    .kernarg_segment_size: 104
    .language:       OpenCL C
    .language_version:
      - 2
      - 0
    .max_flat_workgroup_size: 64
    .name:           fft_rtc_back_len176_factors_11_16_wgs_64_tpt_16_halfLds_sp_op_CI_CI_unitstride_sbrr_dirReg
    .private_segment_fixed_size: 0
    .sgpr_count:     41
    .sgpr_spill_count: 0
    .symbol:         fft_rtc_back_len176_factors_11_16_wgs_64_tpt_16_halfLds_sp_op_CI_CI_unitstride_sbrr_dirReg.kd
    .uniform_work_group_size: 1
    .uses_dynamic_stack: false
    .vgpr_count:     79
    .vgpr_spill_count: 0
    .wavefront_size: 32
    .workgroup_processor_mode: 1
amdhsa.target:   amdgcn-amd-amdhsa--gfx1201
amdhsa.version:
  - 1
  - 2
...

	.end_amdgpu_metadata
